;; amdgpu-corpus repo=ROCm/rocFFT kind=compiled arch=gfx1201 opt=O3
	.text
	.amdgcn_target "amdgcn-amd-amdhsa--gfx1201"
	.amdhsa_code_object_version 6
	.protected	bluestein_single_back_len120_dim1_dp_op_CI_CI ; -- Begin function bluestein_single_back_len120_dim1_dp_op_CI_CI
	.globl	bluestein_single_back_len120_dim1_dp_op_CI_CI
	.p2align	8
	.type	bluestein_single_back_len120_dim1_dp_op_CI_CI,@function
bluestein_single_back_len120_dim1_dp_op_CI_CI: ; @bluestein_single_back_len120_dim1_dp_op_CI_CI
; %bb.0:
	s_load_b128 s[12:15], s[0:1], 0x28
	v_mul_u32_u24_e32 v1, 0x1556, v0
	s_mov_b32 s2, exec_lo
	s_delay_alu instid0(VALU_DEP_1) | instskip(NEXT) | instid1(VALU_DEP_1)
	v_lshrrev_b32_e32 v1, 16, v1
	v_mad_co_u64_u32 v[128:129], null, ttmp9, 5, v[1:2]
	v_mov_b32_e32 v129, 0
	s_wait_kmcnt 0x0
	s_delay_alu instid0(VALU_DEP_1)
	v_cmpx_gt_u64_e64 s[12:13], v[128:129]
	s_cbranch_execz .LBB0_15
; %bb.1:
	s_clause 0x1
	s_load_b128 s[4:7], s[0:1], 0x18
	s_load_b64 s[12:13], s[0:1], 0x0
	v_mul_lo_u16 v1, v1, 12
	v_mul_hi_u32 v78, 0xcccccccd, v128
	s_delay_alu instid0(VALU_DEP_2) | instskip(NEXT) | instid1(VALU_DEP_2)
	v_sub_nc_u16 v76, v0, v1
	v_lshrrev_b32_e32 v78, 2, v78
	s_wait_kmcnt 0x0
	s_load_b128 s[8:11], s[4:5], 0x0
	s_wait_kmcnt 0x0
	v_mad_co_u64_u32 v[12:13], null, s10, v128, 0
	v_and_b32_e32 v131, 0xffff, v76
	s_mul_u64 s[2:3], s[8:9], 40
	s_mul_u64 s[4:5], s[8:9], 0x140
	s_lshl_b64 s[16:17], s[2:3], 4
	s_mov_b32 s2, 0
	s_delay_alu instid0(VALU_DEP_2)
	v_mov_b32_e32 v0, v13
	v_mad_co_u64_u32 v[14:15], null, s8, v131, 0
	v_or_b32_e32 v136, 0x50, v131
	v_lshlrev_b32_e32 v77, 4, v131
	v_or_b32_e32 v134, 32, v131
	v_or_b32_e32 v132, 0x48, v131
	;; [unrolled: 1-line block ×3, first 2 shown]
	v_mad_co_u64_u32 v[16:17], null, s8, v136, 0
	v_mov_b32_e32 v1, v15
	s_delay_alu instid0(VALU_DEP_1) | instskip(NEXT) | instid1(VALU_DEP_3)
	v_mad_co_u64_u32 v[2:3], null, s11, v128, v[0:1]
	v_mov_b32_e32 v0, v17
	s_delay_alu instid0(VALU_DEP_2) | instskip(NEXT) | instid1(VALU_DEP_2)
	v_mad_co_u64_u32 v[17:18], null, s9, v131, v[1:2]
	v_mad_co_u64_u32 v[18:19], null, s9, v136, v[0:1]
	v_mov_b32_e32 v13, v2
	s_clause 0x2
	global_load_b128 v[4:7], v77, s[12:13]
	global_load_b128 v[0:3], v77, s[12:13] offset:320
	global_load_b128 v[8:11], v77, s[12:13] offset:1280
	v_mov_b32_e32 v15, v17
	v_lshlrev_b64_e32 v[12:13], 4, v[12:13]
	v_mov_b32_e32 v17, v18
	s_delay_alu instid0(VALU_DEP_3) | instskip(NEXT) | instid1(VALU_DEP_3)
	v_lshlrev_b64_e32 v[14:15], 4, v[14:15]
	v_add_co_u32 v26, vcc_lo, s14, v12
	s_delay_alu instid0(VALU_DEP_4) | instskip(NEXT) | instid1(VALU_DEP_4)
	v_add_co_ci_u32_e32 v27, vcc_lo, s15, v13, vcc_lo
	v_lshlrev_b64_e32 v[12:13], 4, v[16:17]
	s_delay_alu instid0(VALU_DEP_3) | instskip(SKIP_1) | instid1(VALU_DEP_3)
	v_add_co_u32 v14, vcc_lo, v26, v14
	s_wait_alu 0xfffd
	v_add_co_ci_u32_e32 v15, vcc_lo, v27, v15, vcc_lo
	s_delay_alu instid0(VALU_DEP_3)
	v_add_co_u32 v12, vcc_lo, v26, v12
	s_wait_alu 0xfffd
	v_add_co_ci_u32_e32 v13, vcc_lo, v27, v13, vcc_lo
	v_add_co_u32 v16, vcc_lo, v14, s4
	s_wait_alu 0xfffd
	v_add_co_ci_u32_e32 v17, vcc_lo, s5, v15, vcc_lo
	global_load_b128 v[28:31], v[12:13], off
	v_add_co_u32 v12, vcc_lo, v16, s4
	s_wait_alu 0xfffd
	v_add_co_ci_u32_e32 v13, vcc_lo, s5, v17, vcc_lo
	s_clause 0x1
	global_load_b128 v[32:35], v[14:15], off
	global_load_b128 v[36:39], v[16:17], off
	v_add_co_u32 v20, vcc_lo, v12, s4
	s_wait_alu 0xfffd
	v_add_co_ci_u32_e32 v21, vcc_lo, s5, v13, vcc_lo
	global_load_b128 v[40:43], v[12:13], off
	v_add_co_u32 v24, vcc_lo, v20, s16
	s_wait_alu 0xfffd
	v_add_co_ci_u32_e32 v25, vcc_lo, s17, v21, vcc_lo
	s_clause 0x1
	global_load_b128 v[16:19], v77, s[12:13] offset:640
	global_load_b128 v[12:15], v77, s[12:13] offset:960
	global_load_b128 v[44:47], v[20:21], off
	global_load_b128 v[20:23], v77, s[12:13] offset:1600
	global_load_b128 v[48:51], v[24:25], off
	s_load_b64 s[10:11], s[0:1], 0x38
	s_load_b128 s[4:7], s[6:7], 0x0
	v_cmp_gt_u16_e32 vcc_lo, 8, v76
	s_wait_loadcnt 0x8
	v_mul_f64_e32 v[60:61], v[30:31], v[10:11]
	v_mul_f64_e32 v[62:63], v[28:29], v[10:11]
	s_wait_loadcnt 0x7
	v_mul_f64_e32 v[52:53], v[34:35], v[6:7]
	v_mul_f64_e32 v[54:55], v[32:33], v[6:7]
	;; [unrolled: 3-line block ×6, first 2 shown]
	v_fma_f64 v[28:29], v[28:29], v[8:9], v[60:61]
	v_fma_f64 v[30:31], v[30:31], v[8:9], -v[62:63]
	v_fma_f64 v[32:33], v[32:33], v[4:5], v[52:53]
	v_fma_f64 v[34:35], v[34:35], v[4:5], -v[54:55]
	;; [unrolled: 2-line block ×3, first 2 shown]
	v_lshl_add_u32 v52, v78, 2, v78
	v_fma_f64 v[40:41], v[40:41], v[16:17], v[64:65]
	v_fma_f64 v[42:43], v[42:43], v[16:17], -v[66:67]
	v_fma_f64 v[44:45], v[44:45], v[12:13], v[68:69]
	v_fma_f64 v[46:47], v[46:47], v[12:13], -v[70:71]
	;; [unrolled: 2-line block ×3, first 2 shown]
	v_sub_nc_u32_e32 v52, v128, v52
	v_mov_b32_e32 v72, s2
	v_add_co_u32 v129, s2, s12, v77
	s_wait_alu 0xf1ff
	v_add_co_ci_u32_e64 v130, null, s13, 0, s2
	v_mul_u32_u24_e32 v52, 0x78, v52
	s_delay_alu instid0(VALU_DEP_1) | instskip(NEXT) | instid1(VALU_DEP_1)
	v_lshlrev_b32_e32 v137, 4, v52
	v_add_nc_u32_e32 v135, v77, v137
	ds_store_b128 v135, v[32:35]
	ds_store_b128 v135, v[36:39] offset:320
	ds_store_b128 v135, v[40:43] offset:640
	;; [unrolled: 1-line block ×5, first 2 shown]
	s_and_saveexec_b32 s3, vcc_lo
	s_cbranch_execz .LBB0_3
; %bb.2:
	v_mad_co_u64_u32 v[36:37], null, s8, v134, 0
	v_mad_co_u64_u32 v[24:25], null, 0xfffffa80, s8, v[24:25]
	;; [unrolled: 1-line block ×4, first 2 shown]
	s_mul_i32 s2, s9, 0xfffffa80
	s_wait_alu 0xfffe
	s_sub_co_i32 s2, s2, s8
	s_wait_alu 0xfffe
	s_delay_alu instid0(VALU_DEP_3) | instskip(SKIP_1) | instid1(VALU_DEP_3)
	v_dual_mov_b32 v28, v37 :: v_dual_add_nc_u32 v25, s2, v25
	v_add_co_u32 v50, s2, v24, s16
	v_mov_b32_e32 v39, v49
	s_delay_alu instid0(VALU_DEP_3)
	v_mad_co_u64_u32 v[37:38], null, s9, v134, v[28:29]
	v_mov_b32_e32 v38, v45
	s_wait_alu 0xf1ff
	v_add_co_ci_u32_e64 v51, s2, s17, v25, s2
	s_clause 0x1
	global_load_b128 v[28:31], v[129:130], off offset:192
	global_load_b128 v[32:35], v[129:130], off offset:832
	v_mad_co_u64_u32 v[40:41], null, s9, v132, v[38:39]
	v_lshlrev_b64_e32 v[36:37], 4, v[36:37]
	s_delay_alu instid0(VALU_DEP_2) | instskip(SKIP_1) | instid1(VALU_DEP_3)
	v_mad_co_u64_u32 v[46:47], null, s9, v133, v[39:40]
	v_mov_b32_e32 v45, v40
	v_add_co_u32 v52, s2, v26, v36
	s_wait_alu 0xf1ff
	s_delay_alu instid0(VALU_DEP_4)
	v_add_co_ci_u32_e64 v53, s2, v27, v37, s2
	global_load_b128 v[36:39], v[24:25], off
	global_load_b128 v[40:43], v[50:51], off
	v_mov_b32_e32 v49, v46
	v_lshlrev_b64_e32 v[24:25], 4, v[44:45]
	v_add_co_u32 v50, s2, v50, s16
	s_wait_alu 0xf1ff
	v_add_co_ci_u32_e64 v51, s2, s17, v51, s2
	v_lshlrev_b64_e32 v[56:57], 4, v[48:49]
	s_delay_alu instid0(VALU_DEP_4)
	v_add_co_u32 v58, s2, v26, v24
	global_load_b128 v[44:47], v[52:53], off
	s_wait_alu 0xf1ff
	v_add_co_ci_u32_e64 v59, s2, v27, v25, s2
	v_add_co_u32 v68, s2, v26, v56
	global_load_b128 v[48:51], v[50:51], off
	global_load_b128 v[52:55], v[129:130], off offset:1472
	s_wait_alu 0xf1ff
	v_add_co_ci_u32_e64 v69, s2, v27, v57, s2
	global_load_b128 v[24:27], v[129:130], off offset:512
	global_load_b128 v[56:59], v[58:59], off
	s_clause 0x1
	global_load_b128 v[60:63], v[129:130], off offset:1152
	global_load_b128 v[64:67], v[129:130], off offset:1792
	global_load_b128 v[68:71], v[68:69], off
	s_wait_loadcnt 0x9
	v_mul_f64_e32 v[73:74], v[38:39], v[30:31]
	v_mul_f64_e32 v[30:31], v[36:37], v[30:31]
	s_wait_loadcnt 0x8
	v_mul_f64_e32 v[75:76], v[42:43], v[34:35]
	v_mul_f64_e32 v[34:35], v[40:41], v[34:35]
	;; [unrolled: 3-line block ×4, first 2 shown]
	v_mul_f64_e32 v[77:78], v[50:51], v[54:55]
	v_mul_f64_e32 v[54:55], v[48:49], v[54:55]
	s_wait_loadcnt 0x0
	v_mul_f64_e32 v[85:86], v[70:71], v[66:67]
	v_mul_f64_e32 v[66:67], v[68:69], v[66:67]
	v_fma_f64 v[26:27], v[36:37], v[28:29], v[73:74]
	v_fma_f64 v[28:29], v[38:39], v[28:29], -v[30:31]
	v_fma_f64 v[30:31], v[40:41], v[32:33], v[75:76]
	v_fma_f64 v[32:33], v[42:43], v[32:33], -v[34:35]
	;; [unrolled: 2-line block ×6, first 2 shown]
	ds_store_b128 v135, v[26:29] offset:192
	ds_store_b128 v135, v[38:41] offset:512
	;; [unrolled: 1-line block ×6, first 2 shown]
.LBB0_3:
	s_wait_alu 0xfffe
	s_or_b32 exec_lo, exec_lo, s3
	global_wb scope:SCOPE_SE
	s_wait_dscnt 0x0
	s_wait_kmcnt 0x0
	s_barrier_signal -1
	s_barrier_wait -1
	global_inv scope:SCOPE_SE
	ds_load_b128 v[56:59], v135
	ds_load_b128 v[64:67], v135 offset:320
	ds_load_b128 v[60:63], v135 offset:640
	;; [unrolled: 1-line block ×5, first 2 shown]
	s_load_b64 s[2:3], s[0:1], 0x8
                                        ; implicit-def: $vgpr24_vgpr25
                                        ; implicit-def: $vgpr28_vgpr29
                                        ; implicit-def: $vgpr32_vgpr33
                                        ; implicit-def: $vgpr36_vgpr37
                                        ; implicit-def: $vgpr40_vgpr41
                                        ; implicit-def: $vgpr44_vgpr45
	s_and_saveexec_b32 s0, vcc_lo
	s_cbranch_execz .LBB0_5
; %bb.4:
	ds_load_b128 v[24:27], v135 offset:192
	ds_load_b128 v[28:31], v135 offset:512
	;; [unrolled: 1-line block ×6, first 2 shown]
.LBB0_5:
	s_wait_alu 0xfffe
	s_or_b32 exec_lo, exec_lo, s0
	s_wait_dscnt 0x0
	v_add_f64_e32 v[73:74], v[70:71], v[50:51]
	v_add_f64_e32 v[75:76], v[68:69], v[48:49]
	v_add_f64_e32 v[77:78], v[38:39], v[46:47]
	v_add_f64_e32 v[79:80], v[36:37], v[44:45]
	v_add_f64_e64 v[81:82], v[70:71], -v[50:51]
	v_add_f64_e64 v[83:84], v[68:69], -v[48:49]
	;; [unrolled: 1-line block ×4, first 2 shown]
	s_mov_b32 s0, 0xe8584caa
	s_mov_b32 s1, 0x3febb67a
	;; [unrolled: 1-line block ×3, first 2 shown]
	s_wait_alu 0xfffe
	s_mov_b32 s8, s0
	v_add_f64_e32 v[89:90], v[60:61], v[52:53]
	v_add_f64_e32 v[91:92], v[62:63], v[54:55]
	v_add_f64_e64 v[103:104], v[32:33], -v[40:41]
	global_wb scope:SCOPE_SE
	s_wait_kmcnt 0x0
	s_barrier_signal -1
	s_barrier_wait -1
	global_inv scope:SCOPE_SE
	v_fma_f64 v[73:74], v[73:74], -0.5, v[66:67]
	v_fma_f64 v[75:76], v[75:76], -0.5, v[64:65]
	;; [unrolled: 1-line block ×4, first 2 shown]
	v_add_f64_e32 v[64:65], v[64:65], v[68:69]
	v_add_f64_e32 v[66:67], v[66:67], v[70:71]
	v_add_f64_e64 v[68:69], v[34:35], -v[42:43]
	s_wait_alu 0xfffe
	v_fma_f64 v[93:94], v[83:84], s[8:9], v[73:74]
	v_fma_f64 v[95:96], v[81:82], s[8:9], v[75:76]
	;; [unrolled: 1-line block ×4, first 2 shown]
	v_add_f64_e32 v[81:82], v[32:33], v[40:41]
	v_add_f64_e32 v[83:84], v[34:35], v[42:43]
	v_fma_f64 v[97:98], v[87:88], s[8:9], v[77:78]
	v_fma_f64 v[99:100], v[85:86], s[8:9], v[79:80]
	;; [unrolled: 1-line block ×4, first 2 shown]
	v_add_f64_e32 v[85:86], v[56:57], v[60:61]
	v_add_f64_e64 v[87:88], v[62:63], -v[54:55]
	v_add_f64_e32 v[62:63], v[58:59], v[62:63]
	v_fma_f64 v[56:57], v[89:90], -0.5, v[56:57]
	v_add_f64_e64 v[60:61], v[60:61], -v[52:53]
	v_fma_f64 v[58:59], v[91:92], -0.5, v[58:59]
	v_add_f64_e32 v[48:49], v[64:65], v[48:49]
	v_add_f64_e32 v[50:51], v[66:67], v[50:51]
	v_mul_f64_e32 v[70:71], s[0:1], v[93:94]
	v_mul_f64_e32 v[89:90], -0.5, v[95:96]
	v_mul_f64_e32 v[91:92], s[8:9], v[75:76]
	v_mul_f64_e32 v[101:102], -0.5, v[73:74]
	v_fma_f64 v[81:82], v[81:82], -0.5, v[24:25]
	v_fma_f64 v[83:84], v[83:84], -0.5, v[26:27]
	v_mul_f64_e32 v[105:106], s[0:1], v[97:98]
	v_mul_f64_e32 v[107:108], -0.5, v[99:100]
	v_mul_f64_e32 v[109:110], s[8:9], v[79:80]
	v_mul_f64_e32 v[111:112], -0.5, v[77:78]
	v_add_f64_e32 v[52:53], v[85:86], v[52:53]
	v_add_f64_e32 v[54:55], v[62:63], v[54:55]
	v_fma_f64 v[113:114], v[87:88], s[0:1], v[56:57]
	v_fma_f64 v[115:116], v[87:88], s[8:9], v[56:57]
	;; [unrolled: 1-line block ×4, first 2 shown]
	v_fma_f64 v[121:122], v[75:76], 0.5, v[70:71]
	v_fma_f64 v[123:124], v[73:74], s[0:1], v[89:90]
	v_fma_f64 v[91:92], v[93:94], 0.5, v[91:92]
	v_fma_f64 v[95:96], v[95:96], s[8:9], v[101:102]
	v_fma_f64 v[56:57], v[68:69], s[0:1], v[81:82]
	;; [unrolled: 1-line block ×5, first 2 shown]
	v_fma_f64 v[58:59], v[79:80], 0.5, v[105:106]
	v_fma_f64 v[62:63], v[77:78], s[0:1], v[107:108]
	v_fma_f64 v[68:69], v[97:98], 0.5, v[109:110]
	v_fma_f64 v[70:71], v[99:100], s[8:9], v[111:112]
	v_add_f64_e32 v[73:74], v[52:53], v[48:49]
	v_add_f64_e32 v[75:76], v[54:55], v[50:51]
	v_add_f64_e64 v[77:78], v[52:53], -v[48:49]
	v_add_f64_e64 v[79:80], v[54:55], -v[50:51]
	v_mul_lo_u16 v97, v131, 6
	v_add_co_u32 v98, null, v131, 12
	s_delay_alu instid0(VALU_DEP_2) | instskip(NEXT) | instid1(VALU_DEP_2)
	v_and_b32_e32 v97, 0xffff, v97
	v_mul_u32_u24_e32 v138, 6, v98
	s_delay_alu instid0(VALU_DEP_2)
	v_lshl_add_u32 v139, v97, 4, v137
	v_add_f64_e32 v[81:82], v[113:114], v[121:122]
	v_add_f64_e32 v[85:86], v[115:116], v[123:124]
	;; [unrolled: 1-line block ×4, first 2 shown]
	v_add_f64_e64 v[89:90], v[113:114], -v[121:122]
	v_add_f64_e64 v[91:92], v[117:118], -v[91:92]
	;; [unrolled: 1-line block ×8, first 2 shown]
	ds_store_b128 v139, v[73:76]
	ds_store_b128 v139, v[81:84] offset:16
	ds_store_b128 v139, v[85:88] offset:32
	;; [unrolled: 1-line block ×5, first 2 shown]
	s_and_saveexec_b32 s0, vcc_lo
	s_cbranch_execz .LBB0_7
; %bb.6:
	v_add_f64_e32 v[26:27], v[26:27], v[34:35]
	v_add_f64_e32 v[30:31], v[30:31], v[38:39]
	;; [unrolled: 1-line block ×4, first 2 shown]
	s_delay_alu instid0(VALU_DEP_4) | instskip(NEXT) | instid1(VALU_DEP_4)
	v_add_f64_e32 v[36:37], v[26:27], v[42:43]
	v_add_f64_e32 v[38:39], v[30:31], v[46:47]
	s_delay_alu instid0(VALU_DEP_4) | instskip(NEXT) | instid1(VALU_DEP_4)
	v_add_f64_e32 v[40:41], v[24:25], v[40:41]
	v_add_f64_e32 v[42:43], v[28:29], v[44:45]
	;; [unrolled: 1-line block ×7, first 2 shown]
	v_add_f64_e64 v[38:39], v[36:37], -v[38:39]
	v_add_f64_e32 v[32:33], v[40:41], v[42:43]
	v_add_f64_e64 v[36:37], v[40:41], -v[42:43]
	v_lshl_add_u32 v40, v138, 4, v137
	ds_store_b128 v40, v[32:35]
	ds_store_b128 v40, v[28:31] offset:16
	ds_store_b128 v40, v[24:27] offset:32
	;; [unrolled: 1-line block ×5, first 2 shown]
.LBB0_7:
	s_wait_alu 0xfffe
	s_or_b32 exec_lo, exec_lo, s0
	v_add_nc_u32_e32 v24, -6, v131
	v_cmp_gt_u16_e64 s0, 6, v131
	global_wb scope:SCOPE_SE
	s_wait_dscnt 0x0
	s_barrier_signal -1
	s_barrier_wait -1
	global_inv scope:SCOPE_SE
	s_wait_alu 0xf1ff
	v_cndmask_b32_e64 v68, v24, v131, s0
	s_mov_b32 s8, 0x134454ff
	s_mov_b32 s9, 0x3fee6f0e
	;; [unrolled: 1-line block ×4, first 2 shown]
	v_mul_i32_i24_e32 v24, 0x90, v68
	v_mul_hi_i32_i24_e32 v25, 0x90, v68
	s_mov_b32 s17, 0x3fe2cf23
	s_mov_b32 s15, 0xbfe2cf23
	s_wait_alu 0xfffe
	s_mov_b32 s14, s16
	v_add_co_u32 v28, s0, s2, v24
	s_wait_alu 0xf1ff
	v_add_co_ci_u32_e64 v29, s0, s3, v25, s0
	s_mov_b32 s0, s8
	s_mov_b32 s18, 0x372fe950
	s_clause 0x8
	global_load_b128 v[44:47], v[28:29], off offset:32
	global_load_b128 v[60:63], v[28:29], off offset:64
	;; [unrolled: 1-line block ×4, first 2 shown]
	global_load_b128 v[24:27], v[28:29], off
	global_load_b128 v[40:43], v[28:29], off offset:16
	global_load_b128 v[36:39], v[28:29], off offset:48
	;; [unrolled: 1-line block ×4, first 2 shown]
	ds_load_b128 v[73:76], v135 offset:576
	ds_load_b128 v[77:80], v135 offset:960
	;; [unrolled: 1-line block ×6, first 2 shown]
	s_mov_b32 s19, 0x3fd3c6ef
	s_mov_b32 s20, 0x9b97f4a8
	s_mov_b32 s21, 0x3fe9e377
	s_wait_loadcnt_dscnt 0x805
	v_mul_f64_e32 v[97:98], v[73:74], v[46:47]
	s_wait_loadcnt_dscnt 0x704
	v_mul_f64_e32 v[99:100], v[79:80], v[62:63]
	v_mul_f64_e32 v[101:102], v[77:78], v[62:63]
	s_wait_loadcnt_dscnt 0x603
	v_mul_f64_e32 v[103:104], v[81:82], v[58:59]
	s_wait_loadcnt_dscnt 0x502
	v_mul_f64_e32 v[105:106], v[85:86], v[66:67]
	v_mul_f64_e32 v[109:110], v[83:84], v[58:59]
	;; [unrolled: 1-line block ×4, first 2 shown]
	s_wait_loadcnt_dscnt 0x401
	v_mul_f64_e32 v[111:112], v[91:92], v[26:27]
	v_mul_f64_e32 v[113:114], v[89:90], v[26:27]
	v_fma_f64 v[97:98], v[75:76], v[44:45], v[97:98]
	v_fma_f64 v[99:100], v[77:78], v[60:61], -v[99:100]
	v_fma_f64 v[101:102], v[79:80], v[60:61], v[101:102]
	v_fma_f64 v[103:104], v[83:84], v[56:57], v[103:104]
	;; [unrolled: 1-line block ×3, first 2 shown]
	v_fma_f64 v[105:106], v[81:82], v[56:57], -v[109:110]
	v_fma_f64 v[69:70], v[73:74], v[44:45], -v[69:70]
	v_fma_f64 v[85:86], v[85:86], v[64:65], -v[107:108]
	ds_load_b128 v[73:76], v135 offset:768
	ds_load_b128 v[77:80], v135 offset:1152
	;; [unrolled: 1-line block ×3, first 2 shown]
	s_wait_loadcnt_dscnt 0x303
	v_mul_f64_e32 v[107:108], v[95:96], v[42:43]
	v_mul_f64_e32 v[109:110], v[93:94], v[42:43]
	v_fma_f64 v[89:90], v[89:90], v[24:25], -v[111:112]
	v_fma_f64 v[91:92], v[91:92], v[24:25], v[113:114]
	s_wait_loadcnt_dscnt 0x202
	v_mul_f64_e32 v[115:116], v[75:76], v[38:39]
	v_mul_f64_e32 v[117:118], v[73:74], v[38:39]
	s_wait_loadcnt_dscnt 0x101
	v_mul_f64_e32 v[119:120], v[79:80], v[34:35]
	s_wait_loadcnt_dscnt 0x0
	v_mul_f64_e32 v[121:122], v[83:84], v[30:31]
	v_mul_f64_e32 v[123:124], v[77:78], v[34:35]
	;; [unrolled: 1-line block ×3, first 2 shown]
	v_add_f64_e64 v[156:157], v[97:98], -v[101:102]
	v_add_f64_e32 v[111:112], v[101:102], v[103:104]
	v_add_f64_e32 v[113:114], v[97:98], v[87:88]
	;; [unrolled: 1-line block ×3, first 2 shown]
	v_add_f64_e64 v[148:149], v[69:70], -v[99:100]
	v_add_f64_e32 v[140:141], v[69:70], v[85:86]
	v_add_f64_e64 v[150:151], v[85:86], -v[105:106]
	v_fma_f64 v[93:94], v[93:94], v[40:41], -v[107:108]
	v_fma_f64 v[95:96], v[95:96], v[40:41], v[109:110]
	v_add_f64_e64 v[152:153], v[99:100], -v[69:70]
	v_add_f64_e64 v[154:155], v[105:106], -v[85:86]
	;; [unrolled: 1-line block ×5, first 2 shown]
	v_fma_f64 v[107:108], v[73:74], v[36:37], -v[115:116]
	v_fma_f64 v[109:110], v[75:76], v[36:37], v[117:118]
	v_fma_f64 v[77:78], v[77:78], v[32:33], -v[119:120]
	v_fma_f64 v[81:82], v[81:82], v[28:29], -v[121:122]
	v_fma_f64 v[79:80], v[79:80], v[32:33], v[123:124]
	v_fma_f64 v[83:84], v[83:84], v[28:29], v[125:126]
	v_add_f64_e64 v[115:116], v[97:98], -v[87:88]
	v_add_f64_e64 v[119:120], v[69:70], -v[85:86]
	;; [unrolled: 1-line block ×4, first 2 shown]
	ds_load_b128 v[73:76], v135
	v_add_f64_e32 v[69:70], v[89:90], v[69:70]
	global_wb scope:SCOPE_SE
	s_wait_dscnt 0x0
	s_barrier_signal -1
	s_barrier_wait -1
	v_fma_f64 v[111:112], v[111:112], -0.5, v[91:92]
	v_fma_f64 v[113:114], v[113:114], -0.5, v[91:92]
	v_fma_f64 v[125:126], v[142:143], -0.5, v[89:90]
	global_inv scope:SCOPE_SE
	v_fma_f64 v[123:124], v[140:141], -0.5, v[89:90]
	v_add_f64_e32 v[89:90], v[91:92], v[97:98]
	v_add_f64_e32 v[172:173], v[73:74], v[93:94]
	;; [unrolled: 1-line block ×7, first 2 shown]
	v_add_f64_e64 v[174:175], v[95:96], -v[83:84]
	v_add_f64_e64 v[180:181], v[93:94], -v[81:82]
	;; [unrolled: 1-line block ×4, first 2 shown]
	v_add_f64_e32 v[69:70], v[69:70], v[99:100]
	s_wait_alu 0xfffe
	v_fma_f64 v[164:165], v[119:120], s[0:1], v[111:112]
	v_fma_f64 v[166:167], v[121:122], s[8:9], v[113:114]
	;; [unrolled: 1-line block ×8, first 2 shown]
	v_add_f64_e32 v[89:90], v[89:90], v[101:102]
	v_fma_f64 v[91:92], v[140:141], -0.5, v[73:74]
	v_fma_f64 v[73:74], v[142:143], -0.5, v[73:74]
	;; [unrolled: 1-line block ×4, first 2 shown]
	v_add_f64_e32 v[140:141], v[148:149], v[150:151]
	v_add_f64_e32 v[142:143], v[152:153], v[154:155]
	;; [unrolled: 1-line block ×4, first 2 shown]
	v_add_f64_e64 v[156:157], v[83:84], -v[79:80]
	v_add_f64_e64 v[158:159], v[79:80], -v[83:84]
	v_add_f64_e32 v[69:70], v[69:70], v[105:106]
	v_fma_f64 v[148:149], v[121:122], s[14:15], v[164:165]
	v_fma_f64 v[150:151], v[119:120], s[14:15], v[166:167]
	;; [unrolled: 1-line block ×8, first 2 shown]
	v_add_f64_e64 v[119:120], v[93:94], -v[107:108]
	v_add_f64_e64 v[93:94], v[107:108], -v[93:94]
	;; [unrolled: 1-line block ×4, first 2 shown]
	v_add_f64_e32 v[107:108], v[172:173], v[107:108]
	v_add_f64_e32 v[109:110], v[178:179], v[109:110]
	v_add_f64_e64 v[121:122], v[81:82], -v[77:78]
	v_add_f64_e64 v[123:124], v[77:78], -v[81:82]
	v_add_f64_e32 v[89:90], v[89:90], v[103:104]
	v_fma_f64 v[99:100], v[174:175], s[8:9], v[91:92]
	v_fma_f64 v[101:102], v[176:177], s[0:1], v[73:74]
	;; [unrolled: 1-line block ×8, first 2 shown]
	v_add_f64_e32 v[69:70], v[69:70], v[85:86]
	v_fma_f64 v[148:149], v[144:145], s[18:19], v[148:149]
	v_fma_f64 v[150:151], v[146:147], s[18:19], v[150:151]
	;; [unrolled: 1-line block ×8, first 2 shown]
	v_add_f64_e32 v[95:96], v[95:96], v[158:159]
	v_add_f64_e32 v[77:78], v[107:108], v[77:78]
	;; [unrolled: 1-line block ×6, first 2 shown]
	v_fma_f64 v[99:100], v[176:177], s[16:17], v[99:100]
	v_fma_f64 v[101:102], v[174:175], s[16:17], v[101:102]
	;; [unrolled: 1-line block ×8, first 2 shown]
	v_mul_f64_e32 v[107:108], s[16:17], v[148:149]
	v_mul_f64_e32 v[109:110], s[8:9], v[150:151]
	v_mul_f64_e32 v[125:126], s[20:21], v[154:155]
	v_mul_f64_e32 v[140:141], s[14:15], v[117:118]
	v_mul_f64_e32 v[123:124], s[18:19], v[152:153]
	v_mul_f64_e32 v[142:143], s[0:1], v[115:116]
	v_mul_f64_e32 v[144:145], s[18:19], v[113:114]
	v_mul_f64_e32 v[146:147], s[20:21], v[111:112]
	v_add_f64_e32 v[77:78], v[77:78], v[81:82]
	v_add_f64_e32 v[79:80], v[79:80], v[83:84]
	;; [unrolled: 1-line block ×3, first 2 shown]
	v_fma_f64 v[99:100], v[119:120], s[18:19], v[99:100]
	v_fma_f64 v[101:102], v[93:94], s[18:19], v[101:102]
	;; [unrolled: 1-line block ×10, first 2 shown]
	v_fma_f64 v[111:112], v[111:112], s[16:17], -v[125:126]
	v_fma_f64 v[115:116], v[148:149], s[20:21], v[140:141]
	v_fma_f64 v[107:108], v[113:114], s[8:9], -v[123:124]
	v_fma_f64 v[117:118], v[150:151], s[18:19], v[142:143]
	v_fma_f64 v[123:124], v[152:153], s[0:1], -v[144:145]
	v_fma_f64 v[125:126], v[154:155], s[14:15], -v[146:147]
	v_cmp_lt_u16_e64 s0, 5, v131
	v_add_f64_e32 v[73:74], v[77:78], v[69:70]
	v_add_f64_e64 v[77:78], v[77:78], -v[69:70]
	v_add_f64_e32 v[75:76], v[79:80], v[81:82]
	v_add_f64_e64 v[79:80], v[79:80], -v[81:82]
	v_or_b32_e32 v69, 48, v131
	v_mov_b32_e32 v70, v72
	s_wait_alu 0xf1ff
	v_cndmask_b32_e64 v71, 0, 60, s0
	v_add_co_u32 v72, s0, v131, -12
	s_delay_alu instid0(VALU_DEP_2) | instskip(NEXT) | instid1(VALU_DEP_1)
	v_add_nc_u32_e32 v68, v68, v71
	v_lshl_add_u32 v141, v68, 4, v137
	v_add_f64_e32 v[81:82], v[99:100], v[97:98]
	v_add_f64_e32 v[85:86], v[101:102], v[105:106]
	;; [unrolled: 1-line block ×8, first 2 shown]
	v_add_f64_e64 v[97:98], v[99:100], -v[97:98]
	v_add_f64_e64 v[99:100], v[103:104], -v[115:116]
	;; [unrolled: 1-line block ×8, first 2 shown]
	s_wait_alu 0xf1ff
	v_add_co_ci_u32_e64 v101, null, 0, -1, s0
	v_cmp_gt_u64_e64 s0, 60, v[69:70]
	v_lshlrev_b32_e32 v104, 4, v131
	ds_store_b128 v141, v[73:76]
	ds_store_b128 v141, v[81:84] offset:96
	ds_store_b128 v141, v[85:88] offset:192
	;; [unrolled: 1-line block ×9, first 2 shown]
	s_wait_alu 0xf1ff
	v_cndmask_b32_e64 v125, v72, v69, s0
	v_cndmask_b32_e64 v126, v101, 0, s0
	global_wb scope:SCOPE_SE
	s_wait_dscnt 0x0
	s_barrier_signal -1
	s_barrier_wait -1
	global_inv scope:SCOPE_SE
	v_lshlrev_b64_e32 v[101:102], 4, v[125:126]
	s_clause 0x1
	global_load_b128 v[76:79], v104, s[2:3] offset:864
	global_load_b128 v[68:71], v104, s[2:3] offset:1056
	v_lshl_add_u32 v140, v125, 4, v137
	v_add_co_u32 v84, s0, s2, v101
	s_wait_alu 0xf1ff
	v_add_co_ci_u32_e64 v85, s0, s3, v102, s0
	s_clause 0x2
	global_load_b128 v[80:83], v104, s[2:3] offset:1248
	global_load_b128 v[72:75], v104, s[2:3] offset:1440
	global_load_b128 v[84:87], v[84:85], off offset:864
	ds_load_b128 v[88:91], v135 offset:960
	ds_load_b128 v[92:95], v135 offset:1152
	;; [unrolled: 1-line block ×6, first 2 shown]
	s_add_nc_u64 s[0:1], s[12:13], 0x780
	s_wait_loadcnt_dscnt 0x405
	v_mul_f64_e32 v[113:114], v[90:91], v[78:79]
	v_mul_f64_e32 v[115:116], v[88:89], v[78:79]
	s_wait_loadcnt_dscnt 0x304
	v_mul_f64_e32 v[117:118], v[94:95], v[70:71]
	v_mul_f64_e32 v[119:120], v[92:93], v[70:71]
	;; [unrolled: 3-line block ×5, first 2 shown]
	v_fma_f64 v[88:89], v[88:89], v[76:77], -v[113:114]
	v_fma_f64 v[90:91], v[90:91], v[76:77], v[115:116]
	v_fma_f64 v[148:149], v[92:93], v[68:69], -v[117:118]
	v_fma_f64 v[150:151], v[94:95], v[68:69], v[119:120]
	;; [unrolled: 2-line block ×5, first 2 shown]
	ds_load_b128 v[92:95], v135
	ds_load_b128 v[100:103], v135 offset:192
	ds_load_b128 v[105:108], v135 offset:384
	;; [unrolled: 1-line block ×3, first 2 shown]
	s_wait_dscnt 0x3
	v_add_f64_e64 v[117:118], v[92:93], -v[88:89]
	v_add_f64_e64 v[119:120], v[94:95], -v[90:91]
	s_wait_dscnt 0x2
	v_add_f64_e64 v[121:122], v[100:101], -v[148:149]
	v_add_f64_e64 v[123:124], v[102:103], -v[150:151]
	;; [unrolled: 3-line block ×4, first 2 shown]
	v_add_f64_e64 v[96:97], v[109:110], -v[154:155]
	v_add_f64_e64 v[98:99], v[111:112], -v[146:147]
	v_fma_f64 v[146:147], v[92:93], 2.0, -v[117:118]
	v_fma_f64 v[148:149], v[94:95], 2.0, -v[119:120]
	;; [unrolled: 1-line block ×10, first 2 shown]
	ds_store_b128 v135, v[117:120] offset:960
	ds_store_b128 v135, v[121:124] offset:1152
	;; [unrolled: 1-line block ×4, first 2 shown]
	ds_store_b128 v135, v[146:149]
	ds_store_b128 v135, v[150:153] offset:192
	ds_store_b128 v135, v[105:108] offset:384
	;; [unrolled: 1-line block ×3, first 2 shown]
	ds_store_b128 v140, v[100:103]
	ds_store_b128 v140, v[96:99] offset:960
	global_wb scope:SCOPE_SE
	s_wait_dscnt 0x0
	s_barrier_signal -1
	s_barrier_wait -1
	global_inv scope:SCOPE_SE
	s_clause 0x5
	global_load_b128 v[105:108], v[129:130], off offset:1920
	global_load_b128 v[109:112], v104, s[0:1] offset:320
	global_load_b128 v[113:116], v104, s[0:1] offset:640
	;; [unrolled: 1-line block ×5, first 2 shown]
	ds_load_b128 v[146:149], v135
	ds_load_b128 v[150:153], v135 offset:320
	ds_load_b128 v[154:157], v135 offset:640
	;; [unrolled: 1-line block ×5, first 2 shown]
	s_wait_loadcnt_dscnt 0x505
	v_mul_f64_e32 v[125:126], v[148:149], v[107:108]
	v_mul_f64_e32 v[107:108], v[146:147], v[107:108]
	s_wait_loadcnt_dscnt 0x404
	v_mul_f64_e32 v[170:171], v[152:153], v[111:112]
	v_mul_f64_e32 v[111:112], v[150:151], v[111:112]
	s_wait_loadcnt_dscnt 0x303
	v_mul_f64_e32 v[172:173], v[156:157], v[115:116]
	v_mul_f64_e32 v[115:116], v[154:155], v[115:116]
	s_wait_loadcnt_dscnt 0x202
	v_mul_f64_e32 v[174:175], v[160:161], v[119:120]
	v_mul_f64_e32 v[119:120], v[158:159], v[119:120]
	s_wait_loadcnt_dscnt 0x101
	v_mul_f64_e32 v[176:177], v[164:165], v[123:124]
	v_mul_f64_e32 v[178:179], v[162:163], v[123:124]
	s_wait_loadcnt_dscnt 0x0
	v_mul_f64_e32 v[180:181], v[168:169], v[144:145]
	v_mul_f64_e32 v[182:183], v[166:167], v[144:145]
	v_fma_f64 v[123:124], v[146:147], v[105:106], -v[125:126]
	v_fma_f64 v[125:126], v[148:149], v[105:106], v[107:108]
	v_fma_f64 v[105:106], v[150:151], v[109:110], -v[170:171]
	v_fma_f64 v[107:108], v[152:153], v[109:110], v[111:112]
	;; [unrolled: 2-line block ×6, first 2 shown]
	ds_store_b128 v135, v[123:126]
	ds_store_b128 v135, v[105:108] offset:320
	ds_store_b128 v135, v[109:112] offset:640
	ds_store_b128 v135, v[113:116] offset:960
	ds_store_b128 v135, v[117:120] offset:1280
	ds_store_b128 v135, v[144:147] offset:1600
	s_and_saveexec_b32 s2, vcc_lo
	s_cbranch_execz .LBB0_9
; %bb.8:
	s_wait_alu 0xfffe
	v_add_co_u32 v124, s0, s0, v104
	s_wait_alu 0xf1ff
	v_add_co_ci_u32_e64 v125, null, s1, 0, s0
	s_clause 0x5
	global_load_b128 v[104:107], v[124:125], off offset:192
	global_load_b128 v[108:111], v[124:125], off offset:512
	;; [unrolled: 1-line block ×6, first 2 shown]
	ds_load_b128 v[142:145], v135 offset:192
	ds_load_b128 v[146:149], v135 offset:512
	;; [unrolled: 1-line block ×6, first 2 shown]
	s_wait_loadcnt_dscnt 0x505
	v_mul_f64_e32 v[166:167], v[144:145], v[106:107]
	v_mul_f64_e32 v[106:107], v[142:143], v[106:107]
	s_wait_loadcnt_dscnt 0x404
	v_mul_f64_e32 v[168:169], v[148:149], v[110:111]
	v_mul_f64_e32 v[110:111], v[146:147], v[110:111]
	;; [unrolled: 3-line block ×6, first 2 shown]
	v_fma_f64 v[142:143], v[142:143], v[104:105], -v[166:167]
	v_fma_f64 v[144:145], v[144:145], v[104:105], v[106:107]
	v_fma_f64 v[104:105], v[146:147], v[108:109], -v[168:169]
	v_fma_f64 v[106:107], v[148:149], v[108:109], v[110:111]
	v_fma_f64 v[108:109], v[150:151], v[112:113], -v[170:171]
	v_fma_f64 v[110:111], v[152:153], v[112:113], v[114:115]
	v_fma_f64 v[112:113], v[154:155], v[116:117], -v[172:173]
	v_fma_f64 v[114:115], v[156:157], v[116:117], v[118:119]
	v_fma_f64 v[116:117], v[158:159], v[120:121], -v[174:175]
	v_fma_f64 v[118:119], v[160:161], v[120:121], v[122:123]
	v_fma_f64 v[120:121], v[162:163], v[124:125], -v[176:177]
	v_fma_f64 v[122:123], v[164:165], v[124:125], v[126:127]
	ds_store_b128 v135, v[142:145] offset:192
	ds_store_b128 v135, v[104:107] offset:512
	;; [unrolled: 1-line block ×6, first 2 shown]
.LBB0_9:
	s_wait_alu 0xfffe
	s_or_b32 exec_lo, exec_lo, s2
	global_wb scope:SCOPE_SE
	s_wait_dscnt 0x0
	s_barrier_signal -1
	s_barrier_wait -1
	global_inv scope:SCOPE_SE
	ds_load_b128 v[112:115], v135
	ds_load_b128 v[116:119], v135 offset:320
	ds_load_b128 v[124:127], v135 offset:640
	;; [unrolled: 1-line block ×5, first 2 shown]
	s_and_saveexec_b32 s0, vcc_lo
	s_cbranch_execz .LBB0_11
; %bb.10:
	v_lshl_add_u32 v52, v131, 4, v137
	ds_load_b128 v[92:95], v135 offset:192
	ds_load_b128 v[88:91], v52 offset:512
	;; [unrolled: 1-line block ×6, first 2 shown]
.LBB0_11:
	s_wait_alu 0xfffe
	s_or_b32 exec_lo, exec_lo, s0
	s_wait_dscnt 0x0
	v_add_f64_e32 v[142:143], v[122:123], v[106:107]
	v_add_f64_e32 v[144:145], v[120:121], v[104:105]
	v_add_f64_e64 v[146:147], v[120:121], -v[104:105]
	s_mov_b32 s0, 0xe8584caa
	s_mov_b32 s1, 0xbfebb67a
	;; [unrolled: 1-line block ×3, first 2 shown]
	s_wait_alu 0xfffe
	s_mov_b32 s2, s0
	v_add_f64_e32 v[148:149], v[124:125], v[108:109]
	v_add_f64_e32 v[150:151], v[126:127], v[110:111]
	v_add_f64_e64 v[152:153], v[122:123], -v[106:107]
	v_add_f64_e64 v[156:157], v[126:127], -v[110:111]
	v_add_f64_e32 v[126:127], v[114:115], v[126:127]
	global_wb scope:SCOPE_SE
	s_barrier_signal -1
	s_barrier_wait -1
	global_inv scope:SCOPE_SE
	v_fma_f64 v[142:143], v[142:143], -0.5, v[118:119]
	v_fma_f64 v[144:145], v[144:145], -0.5, v[116:117]
	v_add_f64_e32 v[116:117], v[116:117], v[120:121]
	v_add_f64_e32 v[118:119], v[118:119], v[122:123]
	v_fma_f64 v[114:115], v[150:151], -0.5, v[114:115]
	v_add_f64_e32 v[126:127], v[126:127], v[110:111]
	s_wait_alu 0xfffe
	v_fma_f64 v[154:155], v[146:147], s[2:3], v[142:143]
	v_fma_f64 v[142:143], v[146:147], s[0:1], v[142:143]
	v_add_f64_e32 v[146:147], v[112:113], v[124:125]
	v_add_f64_e64 v[124:125], v[124:125], -v[108:109]
	v_fma_f64 v[112:113], v[148:149], -0.5, v[112:113]
	v_fma_f64 v[120:121], v[152:153], s[0:1], v[144:145]
	v_fma_f64 v[122:123], v[152:153], s[2:3], v[144:145]
	v_add_f64_e32 v[104:105], v[116:117], v[104:105]
	v_add_f64_e32 v[116:117], v[118:119], v[106:107]
	v_mul_f64_e32 v[144:145], s[0:1], v[154:155]
	v_mul_f64_e32 v[148:149], s[0:1], v[142:143]
	v_mul_f64_e32 v[150:151], 0.5, v[154:155]
	v_mul_f64_e32 v[142:143], -0.5, v[142:143]
	v_add_f64_e32 v[146:147], v[146:147], v[108:109]
	v_fma_f64 v[152:153], v[156:157], s[0:1], v[112:113]
	v_fma_f64 v[154:155], v[156:157], s[2:3], v[112:113]
	;; [unrolled: 1-line block ×4, first 2 shown]
	v_add_f64_e32 v[108:109], v[126:127], v[116:117]
	v_add_f64_e64 v[112:113], v[126:127], -v[116:117]
	v_fma_f64 v[124:125], v[120:121], 0.5, v[144:145]
	v_fma_f64 v[144:145], v[122:123], -0.5, v[148:149]
	v_fma_f64 v[148:149], v[120:121], s[2:3], v[150:151]
	v_fma_f64 v[150:151], v[122:123], s[2:3], v[142:143]
	v_add_f64_e32 v[106:107], v[146:147], v[104:105]
	v_add_f64_e64 v[110:111], v[146:147], -v[104:105]
	v_add_nc_u32_e32 v105, 0x180, v135
	v_add_nc_u32_e32 v104, 0x240, v135
	v_add_f64_e32 v[114:115], v[152:153], v[124:125]
	v_add_f64_e32 v[118:119], v[154:155], v[144:145]
	;; [unrolled: 1-line block ×4, first 2 shown]
	v_add_f64_e64 v[122:123], v[152:153], -v[124:125]
	v_add_f64_e64 v[124:125], v[156:157], -v[148:149]
	;; [unrolled: 1-line block ×4, first 2 shown]
	ds_store_b128 v139, v[106:109]
	ds_store_b128 v139, v[114:117] offset:16
	ds_store_b128 v139, v[118:121] offset:32
	;; [unrolled: 1-line block ×5, first 2 shown]
	s_and_saveexec_b32 s8, vcc_lo
	s_cbranch_execz .LBB0_13
; %bb.12:
	v_add_f64_e32 v[106:107], v[98:99], v[54:55]
	v_add_f64_e32 v[108:109], v[96:97], v[52:53]
	v_add_f64_e64 v[110:111], v[96:97], -v[52:53]
	v_add_f64_e32 v[112:113], v[102:103], v[50:51]
	v_add_f64_e64 v[114:115], v[98:99], -v[54:55]
	v_add_f64_e32 v[116:117], v[100:101], v[48:49]
	v_add_f64_e32 v[120:121], v[94:95], v[102:103]
	v_fma_f64 v[106:107], v[106:107], -0.5, v[90:91]
	v_fma_f64 v[108:109], v[108:109], -0.5, v[88:89]
	v_add_f64_e32 v[90:91], v[90:91], v[98:99]
	v_add_f64_e32 v[88:89], v[88:89], v[96:97]
	v_add_f64_e64 v[98:99], v[102:103], -v[50:51]
	v_fma_f64 v[94:95], v[112:113], -0.5, v[94:95]
	v_fma_f64 v[118:119], v[110:111], s[0:1], v[106:107]
	v_fma_f64 v[106:107], v[110:111], s[2:3], v[106:107]
	v_add_f64_e64 v[110:111], v[100:101], -v[48:49]
	v_add_f64_e32 v[100:101], v[92:93], v[100:101]
	v_fma_f64 v[92:93], v[116:117], -0.5, v[92:93]
	v_fma_f64 v[96:97], v[114:115], s[2:3], v[108:109]
	v_fma_f64 v[108:109], v[114:115], s[0:1], v[108:109]
	v_add_f64_e32 v[116:117], v[120:121], v[50:51]
	v_add_f64_e32 v[54:55], v[90:91], v[54:55]
	;; [unrolled: 1-line block ×3, first 2 shown]
	v_mul_f64_e32 v[102:103], -0.5, v[118:119]
	v_mul_f64_e32 v[112:113], 0.5, v[106:107]
	v_mul_f64_e32 v[106:107], s[0:1], v[106:107]
	v_mul_f64_e32 v[114:115], s[0:1], v[118:119]
	v_add_f64_e32 v[90:91], v[100:101], v[48:49]
	v_fma_f64 v[88:89], v[110:111], s[0:1], v[94:95]
	v_fma_f64 v[100:101], v[110:111], s[2:3], v[94:95]
	;; [unrolled: 1-line block ×4, first 2 shown]
	v_add_f64_e64 v[50:51], v[116:117], -v[54:55]
	v_add_f64_e32 v[54:55], v[116:117], v[54:55]
	v_fma_f64 v[94:95], v[96:97], s[2:3], v[102:103]
	v_fma_f64 v[102:103], v[108:109], s[2:3], v[112:113]
	v_fma_f64 v[106:107], v[108:109], 0.5, v[106:107]
	v_fma_f64 v[108:109], v[96:97], -0.5, v[114:115]
	v_add_f64_e64 v[48:49], v[90:91], -v[52:53]
	v_add_f64_e32 v[52:53], v[90:91], v[52:53]
	v_add_f64_e64 v[90:91], v[88:89], -v[94:95]
	v_add_f64_e32 v[98:99], v[100:101], v[102:103]
	v_add_f64_e32 v[96:97], v[118:119], v[106:107]
	;; [unrolled: 1-line block ×4, first 2 shown]
	v_add_f64_e64 v[102:103], v[100:101], -v[102:103]
	v_add_f64_e64 v[100:101], v[118:119], -v[106:107]
	;; [unrolled: 1-line block ×3, first 2 shown]
	v_lshl_add_u32 v106, v138, 4, v137
	ds_store_b128 v106, v[52:55]
	ds_store_b128 v106, v[96:99] offset:16
	ds_store_b128 v106, v[92:95] offset:32
	ds_store_b128 v106, v[48:51] offset:48
	ds_store_b128 v106, v[100:103] offset:64
	ds_store_b128 v106, v[88:91] offset:80
.LBB0_13:
	s_wait_alu 0xfffe
	s_or_b32 exec_lo, exec_lo, s8
	global_wb scope:SCOPE_SE
	s_wait_dscnt 0x0
	s_barrier_signal -1
	s_barrier_wait -1
	global_inv scope:SCOPE_SE
	ds_load_b128 v[48:51], v135 offset:576
	ds_load_b128 v[52:55], v135 offset:960
	;; [unrolled: 1-line block ×6, first 2 shown]
	s_mov_b32 s8, 0x134454ff
	s_mov_b32 s9, 0xbfee6f0e
	;; [unrolled: 1-line block ×3, first 2 shown]
	s_wait_alu 0xfffe
	s_mov_b32 s0, s8
	s_mov_b32 s14, 0x4755a5e
	;; [unrolled: 1-line block ×4, first 2 shown]
	s_wait_alu 0xfffe
	s_mov_b32 s2, s14
	s_mov_b32 s12, 0x372fe950
	;; [unrolled: 1-line block ×6, first 2 shown]
	s_wait_alu 0xfffe
	s_mov_b32 s18, s12
	s_mov_b32 s21, 0xbfe9e377
	s_wait_dscnt 0x5
	v_mul_f64_e32 v[106:107], v[46:47], v[48:49]
	s_wait_dscnt 0x4
	v_mul_f64_e32 v[108:109], v[62:63], v[52:53]
	;; [unrolled: 2-line block ×5, first 2 shown]
	v_mul_f64_e32 v[46:47], v[46:47], v[50:51]
	v_mul_f64_e32 v[62:63], v[62:63], v[54:55]
	;; [unrolled: 1-line block ×4, first 2 shown]
	s_wait_dscnt 0x0
	v_mul_f64_e32 v[120:121], v[42:43], v[102:103]
	v_mul_f64_e32 v[42:43], v[42:43], v[100:101]
	;; [unrolled: 1-line block ×3, first 2 shown]
	s_mov_b32 s20, s16
	v_fma_f64 v[50:51], v[44:45], v[50:51], -v[106:107]
	v_fma_f64 v[54:55], v[60:61], v[54:55], -v[108:109]
	;; [unrolled: 1-line block ×4, first 2 shown]
	ds_load_b128 v[106:109], v135 offset:768
	ds_load_b128 v[110:113], v135 offset:1152
	;; [unrolled: 1-line block ×3, first 2 shown]
	v_fma_f64 v[44:45], v[44:45], v[48:49], v[46:47]
	v_fma_f64 v[46:47], v[60:61], v[52:53], v[62:63]
	;; [unrolled: 1-line block ×4, first 2 shown]
	v_fma_f64 v[56:57], v[24:25], v[98:99], -v[118:119]
	v_fma_f64 v[62:63], v[40:41], v[100:101], v[120:121]
	v_fma_f64 v[40:41], v[40:41], v[102:103], -v[42:43]
	s_wait_dscnt 0x2
	v_mul_f64_e32 v[122:123], v[38:39], v[108:109]
	v_mul_f64_e32 v[38:39], v[38:39], v[106:107]
	s_wait_dscnt 0x1
	v_mul_f64_e32 v[124:125], v[34:35], v[112:113]
	s_wait_dscnt 0x0
	v_mul_f64_e32 v[126:127], v[30:31], v[116:117]
	v_mul_f64_e32 v[34:35], v[34:35], v[110:111]
	;; [unrolled: 1-line block ×3, first 2 shown]
	v_add_f64_e32 v[58:59], v[54:55], v[90:91]
	v_add_f64_e32 v[60:61], v[50:51], v[94:95]
	v_add_f64_e64 v[142:143], v[44:45], -v[46:47]
	v_add_f64_e64 v[92:93], v[46:47], -v[48:49]
	v_add_f64_e32 v[66:67], v[44:45], v[52:53]
	v_add_f64_e64 v[88:89], v[44:45], -v[52:53]
	v_add_f64_e64 v[144:145], v[52:53], -v[48:49]
	;; [unrolled: 1-line block ×3, first 2 shown]
	v_fma_f64 v[42:43], v[36:37], v[106:107], v[122:123]
	v_fma_f64 v[36:37], v[36:37], v[108:109], -v[38:39]
	v_fma_f64 v[38:39], v[32:33], v[110:111], v[124:125]
	v_fma_f64 v[64:65], v[28:29], v[114:115], v[126:127]
	v_fma_f64 v[32:33], v[32:33], v[112:113], -v[34:35]
	v_fma_f64 v[28:29], v[28:29], v[116:117], -v[30:31]
	v_fma_f64 v[30:31], v[24:25], v[96:97], v[26:27]
	v_add_f64_e32 v[34:35], v[46:47], v[48:49]
	v_add_f64_e64 v[106:107], v[50:51], -v[94:95]
	v_add_f64_e64 v[108:109], v[50:51], -v[54:55]
	;; [unrolled: 1-line block ×6, first 2 shown]
	ds_load_b128 v[24:27], v135
	v_add_f64_e32 v[50:51], v[56:57], v[50:51]
	global_wb scope:SCOPE_SE
	s_wait_dscnt 0x0
	s_barrier_signal -1
	v_fma_f64 v[58:59], v[58:59], -0.5, v[56:57]
	v_fma_f64 v[60:61], v[60:61], -0.5, v[56:57]
	s_barrier_wait -1
	global_inv scope:SCOPE_SE
	v_add_f64_e32 v[122:123], v[24:25], v[62:63]
	v_add_f64_e32 v[137:138], v[26:27], v[40:41]
	v_add_f64_e64 v[148:149], v[40:41], -v[36:37]
	v_add_f64_e32 v[96:97], v[42:43], v[38:39]
	v_add_f64_e32 v[98:99], v[62:63], v[64:65]
	;; [unrolled: 1-line block ×4, first 2 shown]
	v_fma_f64 v[66:67], v[66:67], -0.5, v[30:31]
	v_fma_f64 v[34:35], v[34:35], -0.5, v[30:31]
	v_add_f64_e32 v[30:31], v[30:31], v[44:45]
	v_add_f64_e64 v[124:125], v[40:41], -v[28:29]
	v_add_f64_e64 v[44:45], v[46:47], -v[44:45]
	;; [unrolled: 1-line block ×6, first 2 shown]
	v_add_f64_e32 v[50:51], v[50:51], v[54:55]
	v_fma_f64 v[118:119], v[88:89], s[0:1], v[58:59]
	v_fma_f64 v[120:121], v[92:93], s[8:9], v[60:61]
	;; [unrolled: 1-line block ×4, first 2 shown]
	v_add_f64_e32 v[36:37], v[137:138], v[36:37]
	v_fma_f64 v[56:57], v[96:97], -0.5, v[24:25]
	v_add_f64_e64 v[96:97], v[62:63], -v[64:65]
	v_fma_f64 v[24:25], v[98:99], -0.5, v[24:25]
	v_add_f64_e64 v[98:99], v[42:43], -v[38:39]
	v_fma_f64 v[100:101], v[100:101], -0.5, v[26:27]
	v_fma_f64 v[26:27], v[102:103], -0.5, v[26:27]
	v_add_f64_e32 v[102:103], v[108:109], v[110:111]
	v_add_f64_e32 v[108:109], v[112:113], v[114:115]
	v_fma_f64 v[110:111], v[106:107], s[8:9], v[34:35]
	v_fma_f64 v[34:35], v[106:107], s[0:1], v[34:35]
	;; [unrolled: 1-line block ×4, first 2 shown]
	v_add_f64_e32 v[30:31], v[30:31], v[46:47]
	v_add_f64_e32 v[46:47], v[142:143], v[144:145]
	;; [unrolled: 1-line block ×4, first 2 shown]
	v_fma_f64 v[114:115], v[92:93], s[2:3], v[118:119]
	v_fma_f64 v[118:119], v[88:89], s[2:3], v[120:121]
	v_fma_f64 v[60:61], v[88:89], s[14:15], v[60:61]
	v_fma_f64 v[58:59], v[92:93], s[14:15], v[58:59]
	v_add_f64_e64 v[88:89], v[62:63], -v[42:43]
	v_add_f64_e64 v[62:63], v[42:43], -v[62:63]
	v_add_f64_e32 v[42:43], v[122:123], v[42:43]
	v_add_f64_e64 v[92:93], v[64:65], -v[38:39]
	v_add_f64_e64 v[120:121], v[38:39], -v[64:65]
	v_add_f64_e32 v[32:33], v[36:37], v[32:33]
	v_add_f64_e32 v[36:37], v[50:51], v[90:91]
	v_fma_f64 v[54:55], v[124:125], s[8:9], v[56:57]
	v_fma_f64 v[56:57], v[124:125], s[0:1], v[56:57]
	;; [unrolled: 1-line block ×12, first 2 shown]
	v_add_f64_e32 v[30:31], v[30:31], v[48:49]
	v_fma_f64 v[106:107], v[102:103], s[12:13], v[114:115]
	v_fma_f64 v[114:115], v[108:109], s[12:13], v[118:119]
	v_fma_f64 v[60:61], v[108:109], s[12:13], v[60:61]
	v_fma_f64 v[58:59], v[102:103], s[12:13], v[58:59]
	v_add_f64_e32 v[38:39], v[42:43], v[38:39]
	v_add_f64_e32 v[88:89], v[88:89], v[92:93]
	;; [unrolled: 1-line block ×5, first 2 shown]
	v_fma_f64 v[42:43], v[126:127], s[14:15], v[54:55]
	v_fma_f64 v[48:49], v[126:127], s[2:3], v[56:57]
	;; [unrolled: 1-line block ×12, first 2 shown]
	v_add_f64_e32 v[28:29], v[30:31], v[52:53]
	v_add_f64_e32 v[30:31], v[36:37], v[94:95]
	v_mul_f64_e32 v[66:67], s[14:15], v[106:107]
	v_mul_f64_e32 v[106:107], s[16:17], v[106:107]
	;; [unrolled: 1-line block ×5, first 2 shown]
	s_wait_alu 0xfffe
	v_mul_f64_e32 v[60:61], s[18:19], v[60:61]
	v_mul_f64_e32 v[102:103], s[14:15], v[58:59]
	;; [unrolled: 1-line block ×3, first 2 shown]
	v_add_f64_e32 v[38:39], v[38:39], v[64:65]
	s_mul_u64 s[8:9], s[4:5], 0x140
	v_fma_f64 v[52:53], v[88:89], s[12:13], v[42:43]
	v_fma_f64 v[64:65], v[88:89], s[12:13], v[48:49]
	;; [unrolled: 1-line block ×8, first 2 shown]
	v_add_f64_e32 v[26:27], v[32:33], v[30:31]
	v_add_f64_e64 v[30:31], v[32:33], -v[30:31]
	v_fma_f64 v[48:49], v[96:97], s[16:17], v[66:67]
	v_fma_f64 v[96:97], v[96:97], s[2:3], v[106:107]
	;; [unrolled: 1-line block ×8, first 2 shown]
	v_add_f64_e32 v[24:25], v[38:39], v[28:29]
	v_add_f64_e64 v[28:29], v[38:39], -v[28:29]
	s_mov_b32 s2, 0x11111111
	s_mov_b32 s3, 0x3f811111
	v_add_f64_e32 v[32:33], v[52:53], v[48:49]
	v_add_f64_e32 v[34:35], v[54:55], v[96:97]
	v_add_f64_e32 v[36:37], v[50:51], v[56:57]
	v_add_f64_e32 v[38:39], v[90:91], v[98:99]
	v_add_f64_e32 v[40:41], v[62:63], v[66:67]
	v_add_f64_e32 v[42:43], v[92:93], v[100:101]
	v_add_f64_e32 v[44:45], v[64:65], v[94:95]
	v_add_f64_e32 v[46:47], v[88:89], v[102:103]
	v_add_f64_e64 v[48:49], v[52:53], -v[48:49]
	v_add_f64_e64 v[52:53], v[50:51], -v[56:57]
	;; [unrolled: 1-line block ×8, first 2 shown]
	ds_store_b128 v141, v[24:27]
	ds_store_b128 v141, v[32:35] offset:96
	ds_store_b128 v141, v[36:39] offset:192
	;; [unrolled: 1-line block ×9, first 2 shown]
	global_wb scope:SCOPE_SE
	s_wait_dscnt 0x0
	s_barrier_signal -1
	s_barrier_wait -1
	global_inv scope:SCOPE_SE
	ds_load_b128 v[24:27], v135 offset:960
	ds_load_b128 v[28:31], v135 offset:1152
	;; [unrolled: 1-line block ×6, first 2 shown]
	s_wait_dscnt 0x5
	v_mul_f64_e32 v[48:49], v[78:79], v[26:27]
	v_mul_f64_e32 v[50:51], v[78:79], v[24:25]
	s_wait_dscnt 0x4
	v_mul_f64_e32 v[52:53], v[70:71], v[30:31]
	v_mul_f64_e32 v[54:55], v[70:71], v[28:29]
	s_wait_dscnt 0x3
	v_mul_f64_e32 v[56:57], v[82:83], v[34:35]
	v_mul_f64_e32 v[58:59], v[82:83], v[32:33]
	s_wait_dscnt 0x2
	v_mul_f64_e32 v[60:61], v[74:75], v[38:39]
	v_mul_f64_e32 v[62:63], v[74:75], v[36:37]
	s_wait_dscnt 0x1
	v_mul_f64_e32 v[64:65], v[86:87], v[42:43]
	v_mul_f64_e32 v[66:67], v[86:87], v[40:41]
	v_fma_f64 v[48:49], v[76:77], v[24:25], v[48:49]
	v_fma_f64 v[50:51], v[76:77], v[26:27], -v[50:51]
	v_fma_f64 v[52:53], v[68:69], v[28:29], v[52:53]
	v_fma_f64 v[54:55], v[68:69], v[30:31], -v[54:55]
	;; [unrolled: 2-line block ×5, first 2 shown]
	ds_load_b128 v[24:27], v135
	ds_load_b128 v[28:31], v135 offset:192
	ds_load_b128 v[32:35], v135 offset:384
	;; [unrolled: 1-line block ×3, first 2 shown]
	s_wait_dscnt 0x3
	v_add_f64_e64 v[40:41], v[24:25], -v[48:49]
	v_add_f64_e64 v[42:43], v[26:27], -v[50:51]
	s_wait_dscnt 0x2
	v_add_f64_e64 v[48:49], v[28:29], -v[52:53]
	v_add_f64_e64 v[50:51], v[30:31], -v[54:55]
	;; [unrolled: 3-line block ×4, first 2 shown]
	v_add_f64_e64 v[60:61], v[44:45], -v[64:65]
	v_add_f64_e64 v[62:63], v[46:47], -v[66:67]
	v_fma_f64 v[24:25], v[24:25], 2.0, -v[40:41]
	v_fma_f64 v[26:27], v[26:27], 2.0, -v[42:43]
	;; [unrolled: 1-line block ×10, first 2 shown]
	ds_store_b128 v135, v[40:43] offset:960
	ds_store_b128 v135, v[48:51] offset:1152
	;; [unrolled: 1-line block ×4, first 2 shown]
	ds_store_b128 v135, v[24:27]
	ds_store_b128 v135, v[28:31] offset:192
	ds_store_b128 v135, v[32:35] offset:384
	;; [unrolled: 1-line block ×3, first 2 shown]
	ds_store_b128 v140, v[44:47]
	ds_store_b128 v140, v[60:63] offset:960
	global_wb scope:SCOPE_SE
	s_wait_dscnt 0x0
	s_barrier_signal -1
	s_barrier_wait -1
	global_inv scope:SCOPE_SE
	ds_load_b128 v[24:27], v135
	ds_load_b128 v[28:31], v135 offset:320
	ds_load_b128 v[32:35], v135 offset:640
	;; [unrolled: 1-line block ×5, first 2 shown]
	v_mad_co_u64_u32 v[60:61], null, s6, v128, 0
	s_wait_dscnt 0x5
	v_mul_f64_e32 v[48:49], v[6:7], v[26:27]
	v_mul_f64_e32 v[6:7], v[6:7], v[24:25]
	s_wait_dscnt 0x4
	v_mul_f64_e32 v[50:51], v[2:3], v[30:31]
	v_mul_f64_e32 v[2:3], v[2:3], v[28:29]
	;; [unrolled: 3-line block ×6, first 2 shown]
	v_fma_f64 v[24:25], v[4:5], v[24:25], v[48:49]
	v_fma_f64 v[6:7], v[4:5], v[26:27], -v[6:7]
	v_fma_f64 v[26:27], v[0:1], v[28:29], v[50:51]
	v_fma_f64 v[0:1], v[0:1], v[30:31], -v[2:3]
	;; [unrolled: 2-line block ×6, first 2 shown]
	v_mad_co_u64_u32 v[4:5], null, s4, v131, 0
	v_mov_b32_e32 v8, v61
	v_mad_co_u64_u32 v[38:39], null, s4, v136, 0
	s_delay_alu instid0(VALU_DEP_2) | instskip(SKIP_3) | instid1(VALU_DEP_1)
	v_mad_co_u64_u32 v[8:9], null, s7, v128, v[8:9]
	s_mul_u64 s[6:7], s[4:5], 40
	s_wait_alu 0xfffe
	s_lshl_b64 s[6:7], s[6:7], 4
	v_mov_b32_e32 v61, v8
	s_delay_alu instid0(VALU_DEP_1)
	v_lshlrev_b64_e32 v[40:41], 4, v[60:61]
	v_mad_co_u64_u32 v[9:10], null, s5, v131, v[5:6]
	v_mul_f64_e32 v[6:7], s[2:3], v[6:7]
	v_mul_f64_e32 v[10:11], s[2:3], v[0:1]
	;; [unrolled: 1-line block ×6, first 2 shown]
	v_mov_b32_e32 v5, v9
	v_mul_f64_e32 v[8:9], s[2:3], v[26:27]
	v_mul_f64_e32 v[20:21], s[2:3], v[30:31]
	;; [unrolled: 1-line block ×4, first 2 shown]
	v_lshlrev_b64_e32 v[42:43], 4, v[4:5]
	v_mul_f64_e32 v[4:5], s[2:3], v[24:25]
	v_mul_f64_e32 v[24:25], s[2:3], v[34:35]
	v_add_co_u32 v2, s0, s10, v40
	s_wait_alu 0xf1ff
	v_add_co_ci_u32_e64 v3, s0, s11, v41, s0
	v_mad_co_u64_u32 v[0:1], null, s5, v136, v[39:40]
	s_delay_alu instid0(VALU_DEP_3) | instskip(SKIP_1) | instid1(VALU_DEP_3)
	v_add_co_u32 v28, s0, v2, v42
	s_wait_alu 0xf1ff
	v_add_co_ci_u32_e64 v29, s0, v3, v43, s0
	s_delay_alu instid0(VALU_DEP_2) | instskip(SKIP_1) | instid1(VALU_DEP_2)
	v_add_co_u32 v30, s0, v28, s8
	s_wait_alu 0xf1ff
	v_add_co_ci_u32_e64 v31, s0, s9, v29, s0
	v_mov_b32_e32 v39, v0
	s_delay_alu instid0(VALU_DEP_3) | instskip(SKIP_1) | instid1(VALU_DEP_3)
	v_add_co_u32 v32, s0, v30, s8
	s_wait_alu 0xf1ff
	v_add_co_ci_u32_e64 v33, s0, s9, v31, s0
	s_delay_alu instid0(VALU_DEP_3) | instskip(NEXT) | instid1(VALU_DEP_3)
	v_lshlrev_b64_e32 v[0:1], 4, v[38:39]
	v_add_co_u32 v34, s0, v32, s8
	s_wait_alu 0xf1ff
	s_delay_alu instid0(VALU_DEP_3) | instskip(NEXT) | instid1(VALU_DEP_3)
	v_add_co_ci_u32_e64 v35, s0, s9, v33, s0
	v_add_co_u32 v36, s0, v2, v0
	s_wait_alu 0xf1ff
	v_add_co_ci_u32_e64 v37, s0, v3, v1, s0
	s_wait_alu 0xfffe
	v_add_co_u32 v0, s0, v34, s6
	s_wait_alu 0xf1ff
	v_add_co_ci_u32_e64 v1, s0, s7, v35, s0
	s_clause 0x5
	global_store_b128 v[28:29], v[4:7], off
	global_store_b128 v[30:31], v[8:11], off
	;; [unrolled: 1-line block ×6, first 2 shown]
	s_and_b32 exec_lo, exec_lo, vcc_lo
	s_cbranch_execz .LBB0_15
; %bb.14:
	s_clause 0x5
	global_load_b128 v[4:7], v[129:130], off offset:192
	global_load_b128 v[8:11], v[129:130], off offset:512
	global_load_b128 v[12:15], v[129:130], off offset:832
	global_load_b128 v[16:19], v[129:130], off offset:1152
	global_load_b128 v[20:23], v[129:130], off offset:1472
	global_load_b128 v[24:27], v[129:130], off offset:1792
	ds_load_b128 v[28:31], v135 offset:192
	ds_load_b128 v[32:35], v135 offset:512
	;; [unrolled: 1-line block ×6, first 2 shown]
	v_mad_co_u64_u32 v[0:1], null, 0xfffffa80, s4, v[0:1]
	s_mul_i32 s0, s5, 0xfffffa80
	s_wait_alu 0xfffe
	s_sub_co_i32 s0, s0, s4
	s_wait_alu 0xfffe
	s_delay_alu instid0(VALU_DEP_1)
	v_add_nc_u32_e32 v1, s0, v1
	s_wait_loadcnt_dscnt 0x505
	v_mul_f64_e32 v[52:53], v[30:31], v[6:7]
	v_mul_f64_e32 v[6:7], v[28:29], v[6:7]
	s_wait_loadcnt_dscnt 0x404
	v_mul_f64_e32 v[54:55], v[34:35], v[10:11]
	v_mul_f64_e32 v[10:11], v[32:33], v[10:11]
	;; [unrolled: 3-line block ×6, first 2 shown]
	v_fma_f64 v[28:29], v[28:29], v[4:5], v[52:53]
	v_fma_f64 v[6:7], v[4:5], v[30:31], -v[6:7]
	v_fma_f64 v[30:31], v[32:33], v[8:9], v[54:55]
	v_fma_f64 v[10:11], v[8:9], v[34:35], -v[10:11]
	;; [unrolled: 2-line block ×6, first 2 shown]
	v_mad_co_u64_u32 v[40:41], null, s4, v134, 0
	v_mad_co_u64_u32 v[42:43], null, s4, v132, 0
	;; [unrolled: 1-line block ×3, first 2 shown]
	s_delay_alu instid0(VALU_DEP_2) | instskip(NEXT) | instid1(VALU_DEP_2)
	v_dual_mov_b32 v4, v41 :: v_dual_mov_b32 v41, v43
	v_mov_b32_e32 v43, v45
	s_delay_alu instid0(VALU_DEP_2)
	v_mad_co_u64_u32 v[45:46], null, s5, v134, v[4:5]
	v_mul_f64_e32 v[4:5], s[2:3], v[28:29]
	v_mul_f64_e32 v[6:7], s[2:3], v[6:7]
	;; [unrolled: 1-line block ×12, first 2 shown]
	v_mad_co_u64_u32 v[28:29], null, s5, v132, v[41:42]
	v_mad_co_u64_u32 v[29:30], null, s5, v133, v[43:44]
	v_mov_b32_e32 v41, v45
	v_add_co_u32 v30, vcc_lo, v0, s6
	s_wait_alu 0xfffd
	v_add_co_ci_u32_e32 v31, vcc_lo, s7, v1, vcc_lo
	v_mov_b32_e32 v43, v28
	v_mov_b32_e32 v45, v29
	v_lshlrev_b64_e32 v[28:29], 4, v[40:41]
	v_add_co_u32 v32, vcc_lo, v30, s6
	s_delay_alu instid0(VALU_DEP_4)
	v_lshlrev_b64_e32 v[34:35], 4, v[42:43]
	s_wait_alu 0xfffd
	v_add_co_ci_u32_e32 v33, vcc_lo, s7, v31, vcc_lo
	v_lshlrev_b64_e32 v[36:37], 4, v[44:45]
	v_add_co_u32 v28, vcc_lo, v2, v28
	s_wait_alu 0xfffd
	v_add_co_ci_u32_e32 v29, vcc_lo, v3, v29, vcc_lo
	v_add_co_u32 v34, vcc_lo, v2, v34
	s_wait_alu 0xfffd
	v_add_co_ci_u32_e32 v35, vcc_lo, v3, v35, vcc_lo
	;; [unrolled: 3-line block ×3, first 2 shown]
	global_store_b128 v[0:1], v[4:7], off
	global_store_b128 v[28:29], v[8:11], off
	;; [unrolled: 1-line block ×6, first 2 shown]
.LBB0_15:
	s_nop 0
	s_sendmsg sendmsg(MSG_DEALLOC_VGPRS)
	s_endpgm
	.section	.rodata,"a",@progbits
	.p2align	6, 0x0
	.amdhsa_kernel bluestein_single_back_len120_dim1_dp_op_CI_CI
		.amdhsa_group_segment_fixed_size 9600
		.amdhsa_private_segment_fixed_size 0
		.amdhsa_kernarg_size 104
		.amdhsa_user_sgpr_count 2
		.amdhsa_user_sgpr_dispatch_ptr 0
		.amdhsa_user_sgpr_queue_ptr 0
		.amdhsa_user_sgpr_kernarg_segment_ptr 1
		.amdhsa_user_sgpr_dispatch_id 0
		.amdhsa_user_sgpr_private_segment_size 0
		.amdhsa_wavefront_size32 1
		.amdhsa_uses_dynamic_stack 0
		.amdhsa_enable_private_segment 0
		.amdhsa_system_sgpr_workgroup_id_x 1
		.amdhsa_system_sgpr_workgroup_id_y 0
		.amdhsa_system_sgpr_workgroup_id_z 0
		.amdhsa_system_sgpr_workgroup_info 0
		.amdhsa_system_vgpr_workitem_id 0
		.amdhsa_next_free_vgpr 184
		.amdhsa_next_free_sgpr 22
		.amdhsa_reserve_vcc 1
		.amdhsa_float_round_mode_32 0
		.amdhsa_float_round_mode_16_64 0
		.amdhsa_float_denorm_mode_32 3
		.amdhsa_float_denorm_mode_16_64 3
		.amdhsa_fp16_overflow 0
		.amdhsa_workgroup_processor_mode 1
		.amdhsa_memory_ordered 1
		.amdhsa_forward_progress 0
		.amdhsa_round_robin_scheduling 0
		.amdhsa_exception_fp_ieee_invalid_op 0
		.amdhsa_exception_fp_denorm_src 0
		.amdhsa_exception_fp_ieee_div_zero 0
		.amdhsa_exception_fp_ieee_overflow 0
		.amdhsa_exception_fp_ieee_underflow 0
		.amdhsa_exception_fp_ieee_inexact 0
		.amdhsa_exception_int_div_zero 0
	.end_amdhsa_kernel
	.text
.Lfunc_end0:
	.size	bluestein_single_back_len120_dim1_dp_op_CI_CI, .Lfunc_end0-bluestein_single_back_len120_dim1_dp_op_CI_CI
                                        ; -- End function
	.section	.AMDGPU.csdata,"",@progbits
; Kernel info:
; codeLenInByte = 10056
; NumSgprs: 24
; NumVgprs: 184
; ScratchSize: 0
; MemoryBound: 0
; FloatMode: 240
; IeeeMode: 1
; LDSByteSize: 9600 bytes/workgroup (compile time only)
; SGPRBlocks: 2
; VGPRBlocks: 22
; NumSGPRsForWavesPerEU: 24
; NumVGPRsForWavesPerEU: 184
; Occupancy: 7
; WaveLimiterHint : 1
; COMPUTE_PGM_RSRC2:SCRATCH_EN: 0
; COMPUTE_PGM_RSRC2:USER_SGPR: 2
; COMPUTE_PGM_RSRC2:TRAP_HANDLER: 0
; COMPUTE_PGM_RSRC2:TGID_X_EN: 1
; COMPUTE_PGM_RSRC2:TGID_Y_EN: 0
; COMPUTE_PGM_RSRC2:TGID_Z_EN: 0
; COMPUTE_PGM_RSRC2:TIDIG_COMP_CNT: 0
	.text
	.p2alignl 7, 3214868480
	.fill 96, 4, 3214868480
	.type	__hip_cuid_3bb67cd4cf241596,@object ; @__hip_cuid_3bb67cd4cf241596
	.section	.bss,"aw",@nobits
	.globl	__hip_cuid_3bb67cd4cf241596
__hip_cuid_3bb67cd4cf241596:
	.byte	0                               ; 0x0
	.size	__hip_cuid_3bb67cd4cf241596, 1

	.ident	"AMD clang version 19.0.0git (https://github.com/RadeonOpenCompute/llvm-project roc-6.4.0 25133 c7fe45cf4b819c5991fe208aaa96edf142730f1d)"
	.section	".note.GNU-stack","",@progbits
	.addrsig
	.addrsig_sym __hip_cuid_3bb67cd4cf241596
	.amdgpu_metadata
---
amdhsa.kernels:
  - .args:
      - .actual_access:  read_only
        .address_space:  global
        .offset:         0
        .size:           8
        .value_kind:     global_buffer
      - .actual_access:  read_only
        .address_space:  global
        .offset:         8
        .size:           8
        .value_kind:     global_buffer
      - .actual_access:  read_only
        .address_space:  global
        .offset:         16
        .size:           8
        .value_kind:     global_buffer
      - .actual_access:  read_only
        .address_space:  global
        .offset:         24
        .size:           8
        .value_kind:     global_buffer
      - .actual_access:  read_only
        .address_space:  global
        .offset:         32
        .size:           8
        .value_kind:     global_buffer
      - .offset:         40
        .size:           8
        .value_kind:     by_value
      - .address_space:  global
        .offset:         48
        .size:           8
        .value_kind:     global_buffer
      - .address_space:  global
        .offset:         56
        .size:           8
        .value_kind:     global_buffer
      - .address_space:  global
        .offset:         64
        .size:           8
        .value_kind:     global_buffer
      - .address_space:  global
        .offset:         72
        .size:           8
        .value_kind:     global_buffer
      - .offset:         80
        .size:           4
        .value_kind:     by_value
      - .address_space:  global
        .offset:         88
        .size:           8
        .value_kind:     global_buffer
      - .address_space:  global
        .offset:         96
        .size:           8
        .value_kind:     global_buffer
    .group_segment_fixed_size: 9600
    .kernarg_segment_align: 8
    .kernarg_segment_size: 104
    .language:       OpenCL C
    .language_version:
      - 2
      - 0
    .max_flat_workgroup_size: 60
    .name:           bluestein_single_back_len120_dim1_dp_op_CI_CI
    .private_segment_fixed_size: 0
    .sgpr_count:     24
    .sgpr_spill_count: 0
    .symbol:         bluestein_single_back_len120_dim1_dp_op_CI_CI.kd
    .uniform_work_group_size: 1
    .uses_dynamic_stack: false
    .vgpr_count:     184
    .vgpr_spill_count: 0
    .wavefront_size: 32
    .workgroup_processor_mode: 1
amdhsa.target:   amdgcn-amd-amdhsa--gfx1201
amdhsa.version:
  - 1
  - 2
...

	.end_amdgpu_metadata
